;; amdgpu-corpus repo=ROCm/rocFFT kind=compiled arch=gfx906 opt=O3
	.text
	.amdgcn_target "amdgcn-amd-amdhsa--gfx906"
	.amdhsa_code_object_version 6
	.protected	bluestein_single_back_len441_dim1_dp_op_CI_CI ; -- Begin function bluestein_single_back_len441_dim1_dp_op_CI_CI
	.globl	bluestein_single_back_len441_dim1_dp_op_CI_CI
	.p2align	8
	.type	bluestein_single_back_len441_dim1_dp_op_CI_CI,@function
bluestein_single_back_len441_dim1_dp_op_CI_CI: ; @bluestein_single_back_len441_dim1_dp_op_CI_CI
; %bb.0:
	s_load_dwordx4 s[0:3], s[4:5], 0x28
	v_mul_u32_u24_e32 v1, 0x411, v0
	v_add_u32_sdwa v84, s6, v1 dst_sel:DWORD dst_unused:UNUSED_PAD src0_sel:DWORD src1_sel:WORD_1
	v_mov_b32_e32 v85, 0
	s_waitcnt lgkmcnt(0)
	v_cmp_gt_u64_e32 vcc, s[0:1], v[84:85]
	s_and_saveexec_b64 s[0:1], vcc
	s_cbranch_execz .LBB0_15
; %bb.1:
	s_load_dwordx2 s[14:15], s[4:5], 0x0
	s_load_dwordx2 s[12:13], s[4:5], 0x38
	v_mov_b32_e32 v2, 63
	v_mul_lo_u16_sdwa v1, v1, v2 dst_sel:DWORD dst_unused:UNUSED_PAD src0_sel:WORD_1 src1_sel:DWORD
	v_sub_u16_e32 v86, v0, v1
	v_cmp_gt_u16_e64 s[0:1], 49, v86
	v_lshlrev_b32_e32 v85, 4, v86
	s_and_saveexec_b64 s[6:7], s[0:1]
	s_cbranch_execz .LBB0_3
; %bb.2:
	s_load_dwordx2 s[8:9], s[4:5], 0x18
	s_waitcnt lgkmcnt(0)
	v_mov_b32_e32 v24, s15
	s_load_dwordx4 s[8:11], s[8:9], 0x0
	s_waitcnt lgkmcnt(0)
	v_mad_u64_u32 v[0:1], s[16:17], s10, v84, 0
	v_mad_u64_u32 v[2:3], s[16:17], s8, v86, 0
	;; [unrolled: 1-line block ×4, first 2 shown]
	v_mov_b32_e32 v1, v4
	v_lshlrev_b64 v[0:1], 4, v[0:1]
	v_mov_b32_e32 v3, v5
	v_mov_b32_e32 v6, s3
	v_lshlrev_b64 v[2:3], 4, v[2:3]
	v_add_co_u32_e32 v0, vcc, s2, v0
	v_addc_co_u32_e32 v1, vcc, v6, v1, vcc
	v_add_co_u32_e32 v32, vcc, v0, v2
	v_addc_co_u32_e32 v33, vcc, v1, v3, vcc
	v_add_co_u32_e32 v25, vcc, s14, v85
	s_movk_i32 s2, 0x1000
	v_addc_co_u32_e32 v24, vcc, 0, v24, vcc
	v_add_co_u32_e32 v64, vcc, s2, v25
	s_mul_i32 s2, s9, 0x310
	s_mul_hi_u32 s3, s8, 0x310
	v_addc_co_u32_e32 v65, vcc, 0, v24, vcc
	s_mulk_i32 s8, 0x310
	s_add_i32 s2, s3, s2
	v_mov_b32_e32 v24, s2
	v_add_co_u32_e32 v34, vcc, s8, v32
	v_addc_co_u32_e32 v35, vcc, v33, v24, vcc
	v_mov_b32_e32 v36, s2
	v_add_co_u32_e32 v40, vcc, s8, v34
	global_load_dwordx4 v[0:3], v85, s[14:15]
	global_load_dwordx4 v[4:7], v85, s[14:15] offset:784
	global_load_dwordx4 v[8:11], v85, s[14:15] offset:1568
	;; [unrolled: 1-line block ×5, first 2 shown]
	global_load_dwordx4 v[24:27], v[32:33], off
	global_load_dwordx4 v[28:31], v[34:35], off
	v_addc_co_u32_e32 v41, vcc, v35, v36, vcc
	v_mov_b32_e32 v37, s2
	v_add_co_u32_e32 v42, vcc, s8, v40
	v_addc_co_u32_e32 v43, vcc, v41, v37, vcc
	v_mov_b32_e32 v45, s2
	v_add_co_u32_e32 v44, vcc, s8, v42
	;; [unrolled: 3-line block ×3, first 2 shown]
	v_addc_co_u32_e32 v49, vcc, v45, v46, vcc
	global_load_dwordx4 v[32:35], v[40:41], off
	global_load_dwordx4 v[36:39], v[42:43], off
	v_mov_b32_e32 v50, s2
	global_load_dwordx4 v[40:43], v[44:45], off
	v_add_co_u32_e32 v66, vcc, s8, v48
	global_load_dwordx4 v[44:47], v[48:49], off
	v_addc_co_u32_e32 v67, vcc, v49, v50, vcc
	global_load_dwordx4 v[48:51], v[66:67], off
	global_load_dwordx4 v[52:55], v[64:65], off offset:608
	global_load_dwordx4 v[56:59], v[64:65], off offset:1392
	;; [unrolled: 1-line block ×3, first 2 shown]
	v_mov_b32_e32 v64, s2
	v_add_co_u32_e32 v68, vcc, s8, v66
	v_addc_co_u32_e32 v69, vcc, v67, v64, vcc
	v_mov_b32_e32 v70, s2
	global_load_dwordx4 v[64:67], v[68:69], off
	v_add_co_u32_e32 v68, vcc, s8, v68
	v_addc_co_u32_e32 v69, vcc, v69, v70, vcc
	global_load_dwordx4 v[68:71], v[68:69], off
	s_waitcnt vmcnt(11)
	v_mul_f64 v[72:73], v[26:27], v[2:3]
	v_mul_f64 v[2:3], v[24:25], v[2:3]
	s_waitcnt vmcnt(10)
	v_mul_f64 v[74:75], v[30:31], v[6:7]
	v_mul_f64 v[6:7], v[28:29], v[6:7]
	;; [unrolled: 3-line block ×6, first 2 shown]
	v_fma_f64 v[22:23], v[24:25], v[0:1], v[72:73]
	v_fma_f64 v[24:25], v[26:27], v[0:1], -v[2:3]
	s_waitcnt vmcnt(4)
	v_mul_f64 v[89:90], v[50:51], v[54:55]
	v_fma_f64 v[0:1], v[28:29], v[4:5], v[74:75]
	v_fma_f64 v[2:3], v[30:31], v[4:5], -v[6:7]
	v_fma_f64 v[4:5], v[32:33], v[8:9], v[76:77]
	v_fma_f64 v[6:7], v[34:35], v[8:9], -v[10:11]
	v_fma_f64 v[8:9], v[36:37], v[12:13], v[78:79]
	s_waitcnt vmcnt(1)
	v_mul_f64 v[26:27], v[64:65], v[58:59]
	ds_write_b128 v85, v[22:25]
	v_mul_f64 v[22:23], v[48:49], v[54:55]
	v_mul_f64 v[24:25], v[66:67], v[58:59]
	v_fma_f64 v[10:11], v[38:39], v[12:13], -v[14:15]
	s_waitcnt vmcnt(0)
	v_mul_f64 v[28:29], v[70:71], v[62:63]
	v_mul_f64 v[30:31], v[68:69], v[62:63]
	v_fma_f64 v[12:13], v[40:41], v[16:17], v[80:81]
	v_fma_f64 v[14:15], v[42:43], v[16:17], -v[18:19]
	v_fma_f64 v[16:17], v[44:45], v[20:21], v[82:83]
	v_fma_f64 v[18:19], v[46:47], v[20:21], -v[87:88]
	;; [unrolled: 2-line block ×5, first 2 shown]
	ds_write_b128 v85, v[0:3] offset:784
	ds_write_b128 v85, v[4:7] offset:1568
	;; [unrolled: 1-line block ×8, first 2 shown]
.LBB0_3:
	s_or_b64 exec, exec, s[6:7]
	s_load_dwordx2 s[6:7], s[4:5], 0x20
	s_load_dwordx2 s[2:3], s[4:5], 0x8
	s_waitcnt lgkmcnt(0)
	; wave barrier
	s_waitcnt lgkmcnt(0)
                                        ; implicit-def: $vgpr0_vgpr1
                                        ; implicit-def: $vgpr12_vgpr13
                                        ; implicit-def: $vgpr16_vgpr17
                                        ; implicit-def: $vgpr20_vgpr21
                                        ; implicit-def: $vgpr4_vgpr5
                                        ; implicit-def: $vgpr8_vgpr9
                                        ; implicit-def: $vgpr24_vgpr25
                                        ; implicit-def: $vgpr28_vgpr29
                                        ; implicit-def: $vgpr32_vgpr33
	s_and_saveexec_b64 s[4:5], s[0:1]
	s_cbranch_execz .LBB0_5
; %bb.4:
	ds_read_b128 v[0:3], v85
	ds_read_b128 v[12:15], v85 offset:784
	ds_read_b128 v[16:19], v85 offset:1568
	;; [unrolled: 1-line block ×8, first 2 shown]
.LBB0_5:
	s_or_b64 exec, exec, s[4:5]
	s_waitcnt lgkmcnt(0)
	v_add_f64 v[42:43], v[12:13], -v[32:33]
	v_add_f64 v[38:39], v[14:15], -v[34:35]
	s_mov_b32 s17, 0x3fe491b7
	s_mov_b32 s16, 0x523c161c
	v_add_f64 v[36:37], v[12:13], v[32:33]
	v_add_f64 v[40:41], v[16:17], -v[28:29]
	v_add_f64 v[32:33], v[18:19], -v[30:31]
	s_mov_b32 s18, 0x8c811c17
	v_mul_f64 v[12:13], v[42:43], s[16:17]
	v_mul_f64 v[44:45], v[38:39], s[16:17]
	s_mov_b32 s19, 0x3fef838b
	v_add_f64 v[34:35], v[14:15], v[34:35]
	v_add_f64 v[58:59], v[20:21], -v[24:25]
	v_add_f64 v[54:55], v[22:23], -v[26:27]
	v_add_f64 v[46:47], v[22:23], v[26:27]
	v_add_f64 v[22:23], v[6:7], -v[10:11]
	v_fma_f64 v[12:13], v[40:41], s[18:19], v[12:13]
	v_fma_f64 v[14:15], v[32:33], s[18:19], v[44:45]
	v_add_f64 v[44:45], v[4:5], -v[8:9]
	v_add_f64 v[50:51], v[4:5], v[8:9]
	v_add_f64 v[56:57], v[6:7], v[10:11]
	s_mov_b32 s4, 0xe8584cab
	s_mov_b32 s24, 0xa2cf5039
	;; [unrolled: 1-line block ×4, first 2 shown]
	v_add_f64 v[48:49], v[16:17], v[28:29]
	v_add_f64 v[52:53], v[18:19], v[30:31]
	;; [unrolled: 1-line block ×3, first 2 shown]
	v_fma_f64 v[12:13], v[58:59], s[4:5], v[12:13]
	v_fma_f64 v[14:15], v[54:55], s[4:5], v[14:15]
	;; [unrolled: 1-line block ×4, first 2 shown]
	v_mul_f64 v[24:25], v[44:45], s[16:17]
	v_mul_f64 v[26:27], v[22:23], s[16:17]
	v_fma_f64 v[28:29], v[50:51], s[24:25], v[0:1]
	v_fma_f64 v[30:31], v[56:57], s[24:25], v[2:3]
	s_mov_b32 s10, 0x748a0bf8
	s_mov_b32 s22, 0x7e0b738b
	;; [unrolled: 1-line block ×4, first 2 shown]
	v_fma_f64 v[16:17], v[48:49], s[22:23], v[16:17]
	v_fma_f64 v[18:19], v[52:53], s[22:23], v[18:19]
	v_fma_f64 v[60:61], v[44:45], s[10:11], v[12:13]
	v_fma_f64 v[62:63], v[22:23], s[10:11], v[14:15]
	v_fma_f64 v[12:13], v[42:43], s[18:19], -v[24:25]
	v_fma_f64 v[14:15], v[38:39], s[18:19], -v[26:27]
	v_fma_f64 v[24:25], v[36:37], s[22:23], v[28:29]
	v_fma_f64 v[26:27], v[34:35], s[22:23], v[30:31]
	s_mov_b32 s21, 0xbfebb67a
	s_mov_b32 s20, s4
	v_fma_f64 v[16:17], v[20:21], -0.5, v[16:17]
	v_fma_f64 v[18:19], v[46:47], -0.5, v[18:19]
	v_fma_f64 v[12:13], v[58:59], s[20:21], v[12:13]
	v_fma_f64 v[14:15], v[54:55], s[20:21], v[14:15]
	v_fma_f64 v[24:25], v[20:21], -0.5, v[24:25]
	v_fma_f64 v[26:27], v[46:47], -0.5, v[26:27]
	s_mov_b32 s26, 0x42522d1b
	s_mov_b32 s27, 0xbfee11f6
	v_fma_f64 v[16:17], v[50:51], s[26:27], v[16:17]
	v_fma_f64 v[18:19], v[56:57], s[26:27], v[18:19]
	;; [unrolled: 1-line block ×6, first 2 shown]
	v_mul_lo_u16_e32 v87, 9, v86
	v_add_f64 v[16:17], v[62:63], v[16:17]
	v_add_f64 v[18:19], v[18:19], -v[60:61]
	; wave barrier
	v_add_f64 v[12:13], v[12:13], v[28:29]
	v_add_f64 v[14:15], v[14:15], -v[30:31]
	v_fma_f64 v[24:25], v[62:63], -2.0, v[16:17]
	v_fma_f64 v[26:27], v[60:61], 2.0, v[18:19]
	v_fma_f64 v[28:29], v[28:29], -2.0, v[12:13]
	v_fma_f64 v[30:31], v[30:31], 2.0, v[14:15]
	s_and_saveexec_b64 s[8:9], s[0:1]
	s_cbranch_execz .LBB0_7
; %bb.6:
	v_mul_f64 v[60:61], v[44:45], s[18:19]
	v_fma_f64 v[62:63], v[52:53], s[24:25], v[2:3]
	s_mov_b32 s17, 0xbfe491b7
	v_mul_f64 v[66:67], v[22:23], s[18:19]
	v_fma_f64 v[68:69], v[48:49], s[24:25], v[0:1]
	v_mul_f64 v[58:59], v[58:59], s[4:5]
	v_mul_f64 v[64:65], v[46:47], 0.5
	v_add_f64 v[52:53], v[52:53], v[34:35]
	v_fma_f64 v[60:61], v[40:41], s[16:17], -v[60:61]
	v_fma_f64 v[62:63], v[56:57], s[22:23], v[62:63]
	v_add_f64 v[48:49], v[48:49], v[36:37]
	v_mul_f64 v[54:55], v[54:55], s[4:5]
	v_mul_f64 v[70:71], v[20:21], 0.5
	v_fma_f64 v[66:67], v[32:33], s[16:17], -v[66:67]
	v_fma_f64 v[68:69], v[50:51], s[22:23], v[68:69]
	v_add_f64 v[22:23], v[22:23], v[38:39]
	v_add_f64 v[58:59], v[58:59], v[60:61]
	v_add_f64 v[60:61], v[62:63], -v[64:65]
	v_add_f64 v[62:63], v[2:3], v[46:47]
	v_add_f64 v[46:47], v[46:47], v[52:53]
	;; [unrolled: 1-line block ×5, first 2 shown]
	v_add_f64 v[56:57], v[68:69], -v[70:71]
	v_fma_f64 v[58:59], v[42:43], s[10:11], v[58:59]
	v_add_f64 v[42:43], v[44:45], v[42:43]
	v_add_f64 v[20:21], v[0:1], v[20:21]
	v_add_f64 v[44:45], v[50:51], v[48:49]
	v_add_f64 v[6:7], v[6:7], v[46:47]
	v_add_f64 v[4:5], v[4:5], v[64:65]
	v_fma_f64 v[34:35], v[34:35], s[26:27], v[60:61]
	v_fma_f64 v[38:39], v[38:39], s[10:11], v[54:55]
	v_fma_f64 v[36:37], v[36:37], s[26:27], v[56:57]
	v_add_f64 v[40:41], v[42:43], -v[40:41]
	v_fma_f64 v[42:43], v[52:53], -0.5, v[62:63]
	v_add_f64 v[22:23], v[22:23], -v[32:33]
	v_fma_f64 v[20:21], v[44:45], -0.5, v[20:21]
	v_add_f64 v[32:33], v[10:11], v[6:7]
	v_add_f64 v[44:45], v[8:9], v[4:5]
	v_add_f64 v[6:7], v[34:35], -v[58:59]
	v_add_f64 v[4:5], v[38:39], v[36:37]
	v_mul_f64 v[34:35], v[40:41], s[4:5]
	v_fma_f64 v[10:11], v[40:41], s[20:21], v[42:43]
	v_mul_f64 v[36:37], v[22:23], s[4:5]
	v_fma_f64 v[8:9], v[22:23], s[4:5], v[20:21]
	v_add_f64 v[2:3], v[2:3], v[32:33]
	v_add_f64 v[0:1], v[0:1], v[44:45]
	v_fma_f64 v[22:23], v[58:59], 2.0, v[6:7]
	v_fma_f64 v[20:21], v[38:39], -2.0, v[4:5]
	v_fma_f64 v[34:35], v[34:35], 2.0, v[10:11]
	v_fma_f64 v[32:33], v[36:37], -2.0, v[8:9]
	v_lshlrev_b32_e32 v36, 4, v87
	ds_write_b128 v36, v[0:3]
	ds_write_b128 v36, v[16:19] offset:16
	ds_write_b128 v36, v[12:15] offset:32
	;; [unrolled: 1-line block ×8, first 2 shown]
.LBB0_7:
	s_or_b64 exec, exec, s[8:9]
	v_mov_b32_e32 v0, 57
	v_mul_lo_u16_sdwa v0, v86, v0 dst_sel:DWORD dst_unused:UNUSED_PAD src0_sel:BYTE_0 src1_sel:DWORD
	v_lshrrev_b16_e32 v62, 9, v0
	v_mul_lo_u16_e32 v0, 9, v62
	v_sub_u16_e32 v0, v86, v0
	v_and_b32_e32 v63, 0xff, v0
	v_mul_u32_u24_e32 v0, 6, v63
	v_lshlrev_b32_e32 v32, 4, v0
	s_load_dwordx4 s[4:7], s[6:7], 0x0
	s_waitcnt lgkmcnt(0)
	; wave barrier
	s_waitcnt lgkmcnt(0)
	global_load_dwordx4 v[8:11], v32, s[2:3]
	global_load_dwordx4 v[4:7], v32, s[2:3] offset:16
	global_load_dwordx4 v[0:3], v32, s[2:3] offset:32
	;; [unrolled: 1-line block ×5, first 2 shown]
	ds_read_b128 v[32:35], v85
	ds_read_b128 v[36:39], v85 offset:1008
	ds_read_b128 v[40:43], v85 offset:2016
	ds_read_b128 v[44:47], v85 offset:3024
	ds_read_b128 v[48:51], v85 offset:4032
	ds_read_b128 v[52:55], v85 offset:5040
	ds_read_b128 v[56:59], v85 offset:6048
	v_mul_u32_u24_e32 v62, 63, v62
	v_add_lshl_u32 v88, v62, v63, 4
	s_mov_b32 s10, 0x37e14327
	s_mov_b32 s8, 0x36b3c0b5
	s_mov_b32 s20, 0xe976ee23
	s_mov_b32 s11, 0x3fe948f6
	s_mov_b32 s9, 0x3fac98ee
	s_mov_b32 s21, 0xbfe11646
	s_mov_b32 s18, 0x429ad128
	s_mov_b32 s19, 0x3febfeb5
	s_mov_b32 s16, 0xaaaaaaaa
	s_mov_b32 s24, 0x5476071b
	s_mov_b32 s22, 0xb247c609
	s_mov_b32 s17, 0xbff2aaaa
	s_mov_b32 s25, 0x3fe77f67
	s_mov_b32 s29, 0xbfe77f67
	s_mov_b32 s23, 0x3fd5d0dc
	s_mov_b32 s28, s24
	s_mov_b32 s31, 0xbfd5d0dc
	s_mov_b32 s30, s22
	s_mov_b32 s26, 0x37c3f68c
	s_mov_b32 s27, 0x3fdc38aa
	s_waitcnt lgkmcnt(0)
	; wave barrier
	s_waitcnt lgkmcnt(0)
	v_mov_b32_e32 v61, s3
	s_movk_i32 s33, 0x60
	v_mov_b32_e32 v60, s2
	s_waitcnt vmcnt(5)
	v_mul_f64 v[62:63], v[38:39], v[10:11]
	v_mul_f64 v[64:65], v[36:37], v[10:11]
	s_waitcnt vmcnt(4)
	v_mul_f64 v[66:67], v[42:43], v[6:7]
	v_mul_f64 v[68:69], v[40:41], v[6:7]
	;; [unrolled: 3-line block ×4, first 2 shown]
	v_mul_f64 v[70:71], v[46:47], v[2:3]
	v_mul_f64 v[72:73], v[44:45], v[2:3]
	s_waitcnt vmcnt(0)
	v_mul_f64 v[82:83], v[50:51], v[14:15]
	v_mul_f64 v[89:90], v[48:49], v[14:15]
	v_fma_f64 v[36:37], v[36:37], v[8:9], -v[62:63]
	v_fma_f64 v[38:39], v[38:39], v[8:9], v[64:65]
	v_fma_f64 v[40:41], v[40:41], v[4:5], -v[66:67]
	v_fma_f64 v[42:43], v[42:43], v[4:5], v[68:69]
	;; [unrolled: 2-line block ×6, first 2 shown]
	v_add_f64 v[62:63], v[36:37], v[56:57]
	v_add_f64 v[64:65], v[38:39], v[58:59]
	v_add_f64 v[36:37], v[36:37], -v[56:57]
	v_add_f64 v[38:39], v[38:39], -v[58:59]
	v_add_f64 v[56:57], v[40:41], v[52:53]
	v_add_f64 v[58:59], v[42:43], v[54:55]
	v_add_f64 v[40:41], v[40:41], -v[52:53]
	v_add_f64 v[42:43], v[42:43], -v[54:55]
	v_add_f64 v[52:53], v[44:45], v[48:49]
	v_add_f64 v[54:55], v[46:47], v[50:51]
	v_add_f64 v[44:45], v[48:49], -v[44:45]
	v_add_f64 v[46:47], v[50:51], -v[46:47]
	v_add_f64 v[48:49], v[56:57], v[62:63]
	v_add_f64 v[50:51], v[58:59], v[64:65]
	v_add_f64 v[66:67], v[56:57], -v[62:63]
	v_add_f64 v[68:69], v[58:59], -v[64:65]
	v_add_f64 v[62:63], v[62:63], -v[52:53]
	v_add_f64 v[64:65], v[64:65], -v[54:55]
	;; [unrolled: 1-line block ×4, first 2 shown]
	v_add_f64 v[70:71], v[44:45], v[40:41]
	v_add_f64 v[72:73], v[46:47], v[42:43]
	v_add_f64 v[74:75], v[44:45], -v[40:41]
	v_add_f64 v[76:77], v[46:47], -v[42:43]
	v_add_f64 v[48:49], v[52:53], v[48:49]
	v_add_f64 v[50:51], v[54:55], v[50:51]
	v_add_f64 v[40:41], v[40:41], -v[36:37]
	v_add_f64 v[42:43], v[42:43], -v[38:39]
	;; [unrolled: 1-line block ×4, first 2 shown]
	v_add_f64 v[36:37], v[70:71], v[36:37]
	v_add_f64 v[38:39], v[72:73], v[38:39]
	v_mul_f64 v[52:53], v[62:63], s[10:11]
	v_mul_f64 v[54:55], v[64:65], s[10:11]
	;; [unrolled: 1-line block ×6, first 2 shown]
	v_add_f64 v[32:33], v[32:33], v[48:49]
	v_add_f64 v[34:35], v[34:35], v[50:51]
	v_mul_f64 v[74:75], v[40:41], s[18:19]
	v_mul_f64 v[76:77], v[42:43], s[18:19]
	v_fma_f64 v[56:57], v[56:57], s[8:9], v[52:53]
	v_fma_f64 v[58:59], v[58:59], s[8:9], v[54:55]
	v_fma_f64 v[62:63], v[66:67], s[24:25], -v[62:63]
	v_fma_f64 v[64:65], v[68:69], s[24:25], -v[64:65]
	;; [unrolled: 1-line block ×4, first 2 shown]
	v_fma_f64 v[66:67], v[44:45], s[22:23], v[70:71]
	v_fma_f64 v[68:69], v[46:47], s[22:23], v[72:73]
	;; [unrolled: 1-line block ×4, first 2 shown]
	v_fma_f64 v[44:45], v[44:45], s[30:31], -v[74:75]
	v_fma_f64 v[46:47], v[46:47], s[30:31], -v[76:77]
	;; [unrolled: 1-line block ×4, first 2 shown]
	v_fma_f64 v[66:67], v[36:37], s[26:27], v[66:67]
	v_fma_f64 v[68:69], v[38:39], s[26:27], v[68:69]
	v_add_f64 v[56:57], v[56:57], v[48:49]
	v_add_f64 v[58:59], v[58:59], v[50:51]
	v_fma_f64 v[74:75], v[36:37], s[26:27], v[44:45]
	v_fma_f64 v[76:77], v[38:39], s[26:27], v[46:47]
	v_add_f64 v[52:53], v[52:53], v[48:49]
	v_add_f64 v[54:55], v[54:55], v[50:51]
	;; [unrolled: 4-line block ×3, first 2 shown]
	v_add_f64 v[36:37], v[68:69], v[56:57]
	v_add_f64 v[38:39], v[58:59], -v[66:67]
	ds_write_b128 v88, v[32:35]
	v_add_f64 v[32:33], v[56:57], -v[68:69]
	v_add_f64 v[34:35], v[66:67], v[58:59]
	v_add_f64 v[40:41], v[76:77], v[52:53]
	v_add_f64 v[42:43], v[54:55], -v[74:75]
	v_add_f64 v[44:45], v[48:49], -v[72:73]
	v_add_f64 v[46:47], v[70:71], v[50:51]
	v_add_f64 v[48:49], v[72:73], v[48:49]
	v_add_f64 v[50:51], v[50:51], -v[70:71]
	v_add_f64 v[52:53], v[52:53], -v[76:77]
	v_add_f64 v[54:55], v[74:75], v[54:55]
	v_mad_u64_u32 v[56:57], s[2:3], v86, s33, v[60:61]
	ds_write_b128 v88, v[36:39] offset:144
	ds_write_b128 v88, v[40:43] offset:288
	ds_write_b128 v88, v[44:47] offset:432
	ds_write_b128 v88, v[48:51] offset:576
	ds_write_b128 v88, v[52:55] offset:720
	ds_write_b128 v88, v[32:35] offset:864
	s_waitcnt lgkmcnt(0)
	; wave barrier
	s_waitcnt lgkmcnt(0)
	global_load_dwordx4 v[44:47], v[56:57], off offset:864
	global_load_dwordx4 v[40:43], v[56:57], off offset:880
	;; [unrolled: 1-line block ×6, first 2 shown]
	ds_read_b128 v[56:59], v85 offset:1008
	ds_read_b128 v[60:63], v85 offset:2016
	;; [unrolled: 1-line block ×6, first 2 shown]
	ds_read_b128 v[80:83], v85
	s_waitcnt vmcnt(5) lgkmcnt(6)
	v_mul_f64 v[89:90], v[58:59], v[46:47]
	v_mul_f64 v[91:92], v[56:57], v[46:47]
	s_waitcnt vmcnt(4) lgkmcnt(5)
	v_mul_f64 v[93:94], v[62:63], v[42:43]
	v_mul_f64 v[95:96], v[60:61], v[42:43]
	;; [unrolled: 3-line block ×4, first 2 shown]
	v_mul_f64 v[97:98], v[66:67], v[38:39]
	v_mul_f64 v[99:100], v[64:65], v[38:39]
	;; [unrolled: 1-line block ×4, first 2 shown]
	v_fma_f64 v[56:57], v[56:57], v[44:45], -v[89:90]
	v_fma_f64 v[58:59], v[58:59], v[44:45], v[91:92]
	v_fma_f64 v[60:61], v[60:61], v[40:41], -v[93:94]
	v_fma_f64 v[62:63], v[62:63], v[40:41], v[95:96]
	v_fma_f64 v[76:77], v[76:77], v[52:53], -v[109:110]
	v_fma_f64 v[72:73], v[72:73], v[48:49], -v[105:106]
	v_fma_f64 v[78:79], v[78:79], v[52:53], v[111:112]
	v_fma_f64 v[74:75], v[74:75], v[48:49], v[107:108]
	v_fma_f64 v[64:65], v[64:65], v[36:37], -v[97:98]
	v_fma_f64 v[66:67], v[66:67], v[36:37], v[99:100]
	v_fma_f64 v[68:69], v[68:69], v[32:33], -v[101:102]
	v_fma_f64 v[70:71], v[70:71], v[32:33], v[103:104]
	v_add_f64 v[89:90], v[56:57], v[76:77]
	v_add_f64 v[91:92], v[60:61], v[72:73]
	;; [unrolled: 1-line block ×4, first 2 shown]
	v_add_f64 v[56:57], v[56:57], -v[76:77]
	v_add_f64 v[60:61], v[60:61], -v[72:73]
	v_add_f64 v[93:94], v[64:65], v[68:69]
	v_add_f64 v[99:100], v[66:67], v[70:71]
	v_add_f64 v[64:65], v[68:69], -v[64:65]
	v_add_f64 v[58:59], v[58:59], -v[78:79]
	;; [unrolled: 1-line block ×4, first 2 shown]
	v_add_f64 v[68:69], v[91:92], v[89:90]
	v_add_f64 v[70:71], v[97:98], v[95:96]
	v_add_f64 v[72:73], v[91:92], -v[89:90]
	v_add_f64 v[74:75], v[93:94], -v[91:92]
	;; [unrolled: 1-line block ×4, first 2 shown]
	v_add_f64 v[91:92], v[64:65], v[60:61]
	v_add_f64 v[97:98], v[64:65], -v[60:61]
	v_add_f64 v[60:61], v[60:61], -v[56:57]
	v_add_f64 v[101:102], v[66:67], v[62:63]
	v_add_f64 v[103:104], v[66:67], -v[62:63]
	v_add_f64 v[62:63], v[62:63], -v[58:59]
	;; [unrolled: 1-line block ×4, first 2 shown]
	v_add_f64 v[68:69], v[93:94], v[68:69]
	v_add_f64 v[70:71], v[99:100], v[70:71]
	v_add_f64 v[64:65], v[56:57], -v[64:65]
	v_add_f64 v[66:67], v[58:59], -v[66:67]
	v_add_f64 v[91:92], v[91:92], v[56:57]
	v_add_f64 v[93:94], v[101:102], v[58:59]
	v_mul_f64 v[97:98], v[97:98], s[20:21]
	v_mul_f64 v[99:100], v[103:104], s[20:21]
	;; [unrolled: 1-line block ×8, first 2 shown]
	s_waitcnt lgkmcnt(0)
	v_add_f64 v[56:57], v[80:81], v[68:69]
	v_add_f64 v[58:59], v[82:83], v[70:71]
	v_fma_f64 v[80:81], v[72:73], s[24:25], -v[101:102]
	v_fma_f64 v[82:83], v[76:77], s[24:25], -v[103:104]
	;; [unrolled: 1-line block ×8, first 2 shown]
	v_fma_f64 v[64:65], v[64:65], s[22:23], v[97:98]
	v_fma_f64 v[66:67], v[66:67], s[22:23], v[99:100]
	;; [unrolled: 1-line block ×10, first 2 shown]
	v_add_f64 v[80:81], v[80:81], v[68:69]
	v_add_f64 v[82:83], v[82:83], v[70:71]
	v_fma_f64 v[91:92], v[91:92], s[26:27], v[64:65]
	v_fma_f64 v[93:94], v[93:94], s[26:27], v[66:67]
	v_add_f64 v[97:98], v[72:73], v[68:69]
	v_add_f64 v[99:100], v[74:75], v[68:69]
	;; [unrolled: 1-line block ×4, first 2 shown]
	v_add_f64 v[72:73], v[80:81], -v[62:63]
	v_add_f64 v[74:75], v[60:61], v[82:83]
	v_add_f64 v[68:69], v[62:63], v[80:81]
	v_add_f64 v[70:71], v[82:83], -v[60:61]
	v_add_f64 v[76:77], v[95:96], v[97:98]
	v_add_f64 v[64:65], v[93:94], v[99:100]
	v_add_f64 v[66:67], v[101:102], -v[91:92]
	v_add_f64 v[78:79], v[103:104], -v[89:90]
	;; [unrolled: 1-line block ×3, first 2 shown]
	v_add_f64 v[62:63], v[89:90], v[103:104]
	v_add_f64 v[80:81], v[99:100], -v[93:94]
	v_add_f64 v[82:83], v[91:92], v[101:102]
	ds_write_b128 v85, v[56:59]
	ds_write_b128 v85, v[64:67] offset:1008
	ds_write_b128 v85, v[76:79] offset:2016
	;; [unrolled: 1-line block ×6, first 2 shown]
	s_waitcnt lgkmcnt(0)
	; wave barrier
	s_waitcnt lgkmcnt(0)
	s_and_saveexec_b64 s[2:3], s[0:1]
	s_cbranch_execz .LBB0_9
; %bb.8:
	v_add_co_u32_e32 v103, vcc, s14, v85
	v_mov_b32_e32 v89, s15
	v_addc_co_u32_e32 v104, vcc, 0, v89, vcc
	v_add_co_u32_e32 v101, vcc, 0x1b90, v103
	v_addc_co_u32_e32 v102, vcc, 0, v104, vcc
	v_add_co_u32_e32 v93, vcc, 0x1000, v103
	v_addc_co_u32_e32 v94, vcc, 0, v104, vcc
	global_load_dwordx4 v[93:96], v[93:94], off offset:2960
	ds_read_b128 v[89:92], v85
	s_movk_i32 s8, 0x2000
	s_waitcnt vmcnt(0) lgkmcnt(0)
	v_mul_f64 v[97:98], v[91:92], v[95:96]
	v_fma_f64 v[97:98], v[89:90], v[93:94], -v[97:98]
	v_mul_f64 v[89:90], v[89:90], v[95:96]
	v_fma_f64 v[99:100], v[91:92], v[93:94], v[89:90]
	global_load_dwordx4 v[93:96], v[101:102], off offset:784
	ds_read_b128 v[89:92], v85 offset:784
	ds_write_b128 v85, v[97:100]
	s_waitcnt vmcnt(0) lgkmcnt(1)
	v_mul_f64 v[97:98], v[91:92], v[95:96]
	v_fma_f64 v[97:98], v[89:90], v[93:94], -v[97:98]
	v_mul_f64 v[89:90], v[89:90], v[95:96]
	v_fma_f64 v[99:100], v[91:92], v[93:94], v[89:90]
	global_load_dwordx4 v[93:96], v[101:102], off offset:1568
	ds_read_b128 v[89:92], v85 offset:1568
	ds_write_b128 v85, v[97:100] offset:784
	s_waitcnt vmcnt(0) lgkmcnt(1)
	v_mul_f64 v[97:98], v[91:92], v[95:96]
	v_fma_f64 v[97:98], v[89:90], v[93:94], -v[97:98]
	v_mul_f64 v[89:90], v[89:90], v[95:96]
	v_fma_f64 v[99:100], v[91:92], v[93:94], v[89:90]
	global_load_dwordx4 v[93:96], v[101:102], off offset:2352
	ds_read_b128 v[89:92], v85 offset:2352
	ds_write_b128 v85, v[97:100] offset:1568
	;; [unrolled: 8-line block ×4, first 2 shown]
	s_waitcnt vmcnt(0) lgkmcnt(1)
	v_mul_f64 v[97:98], v[91:92], v[95:96]
	v_fma_f64 v[97:98], v[89:90], v[93:94], -v[97:98]
	v_mul_f64 v[89:90], v[89:90], v[95:96]
	v_fma_f64 v[99:100], v[91:92], v[93:94], v[89:90]
	v_add_co_u32_e32 v93, vcc, s8, v103
	v_addc_co_u32_e32 v94, vcc, 0, v104, vcc
	global_load_dwordx4 v[93:96], v[93:94], off offset:3568
	ds_read_b128 v[89:92], v85 offset:4704
	s_movk_i32 s8, 0x3000
	ds_write_b128 v85, v[97:100] offset:3920
	v_add_co_u32_e32 v101, vcc, s8, v103
	v_addc_co_u32_e32 v102, vcc, 0, v104, vcc
	s_waitcnt vmcnt(0) lgkmcnt(1)
	v_mul_f64 v[97:98], v[91:92], v[95:96]
	v_fma_f64 v[97:98], v[89:90], v[93:94], -v[97:98]
	v_mul_f64 v[89:90], v[89:90], v[95:96]
	v_fma_f64 v[99:100], v[91:92], v[93:94], v[89:90]
	global_load_dwordx4 v[93:96], v[101:102], off offset:256
	ds_read_b128 v[89:92], v85 offset:5488
	ds_write_b128 v85, v[97:100] offset:4704
	s_waitcnt vmcnt(0) lgkmcnt(1)
	v_mul_f64 v[97:98], v[91:92], v[95:96]
	v_fma_f64 v[97:98], v[89:90], v[93:94], -v[97:98]
	v_mul_f64 v[89:90], v[89:90], v[95:96]
	v_fma_f64 v[99:100], v[91:92], v[93:94], v[89:90]
	global_load_dwordx4 v[93:96], v[101:102], off offset:1040
	ds_read_b128 v[89:92], v85 offset:6272
	ds_write_b128 v85, v[97:100] offset:5488
	s_waitcnt vmcnt(0) lgkmcnt(1)
	v_mul_f64 v[97:98], v[91:92], v[95:96]
	v_fma_f64 v[97:98], v[89:90], v[93:94], -v[97:98]
	v_mul_f64 v[89:90], v[89:90], v[95:96]
	v_fma_f64 v[99:100], v[91:92], v[93:94], v[89:90]
	ds_write_b128 v85, v[97:100] offset:6272
.LBB0_9:
	s_or_b64 exec, exec, s[2:3]
	s_waitcnt lgkmcnt(0)
	; wave barrier
	s_waitcnt lgkmcnt(0)
	s_and_saveexec_b64 s[2:3], s[0:1]
	s_cbranch_execz .LBB0_11
; %bb.10:
	ds_read_b128 v[56:59], v85
	ds_read_b128 v[64:67], v85 offset:784
	ds_read_b128 v[76:79], v85 offset:1568
	;; [unrolled: 1-line block ×8, first 2 shown]
.LBB0_11:
	s_or_b64 exec, exec, s[2:3]
	s_waitcnt lgkmcnt(0)
	; wave barrier
	s_waitcnt lgkmcnt(0)
	s_and_saveexec_b64 s[2:3], s[0:1]
	s_cbranch_execz .LBB0_13
; %bb.12:
	v_add_f64 v[89:90], v[68:69], -v[60:61]
	s_mov_b32 s8, 0x8c811c17
	s_mov_b32 s9, 0x3fef838b
	v_add_f64 v[95:96], v[76:77], -v[28:29]
	v_add_f64 v[99:100], v[78:79], v[30:31]
	v_add_f64 v[101:102], v[70:71], -v[62:63]
	v_add_f64 v[76:77], v[76:77], v[28:29]
	s_mov_b32 s22, 0xa2cf5039
	v_mul_f64 v[97:98], v[89:90], s[8:9]
	s_mov_b32 s17, 0xbfe491b7
	s_mov_b32 s16, 0x523c161c
	;; [unrolled: 1-line block ×3, first 2 shown]
	v_fma_f64 v[103:104], v[99:100], s[22:23], v[58:59]
	v_add_f64 v[78:79], v[78:79], -v[30:31]
	v_add_f64 v[105:106], v[68:69], v[60:61]
	v_mul_f64 v[30:31], v[101:102], s[8:9]
	v_fma_f64 v[28:29], v[95:96], s[16:17], -v[97:98]
	v_add_f64 v[97:98], v[70:71], v[62:63]
	v_fma_f64 v[107:108], v[76:77], s[22:23], v[56:57]
	s_mov_b32 s20, 0x7e0b738b
	s_mov_b32 s21, 0x3fc63a1a
	v_add_f64 v[91:92], v[64:65], -v[24:25]
	v_add_f64 v[93:94], v[72:73], -v[80:81]
	v_add_f64 v[109:110], v[74:75], v[82:83]
	v_add_f64 v[74:75], v[74:75], -v[82:83]
	v_fma_f64 v[103:104], v[97:98], s[20:21], v[103:104]
	v_fma_f64 v[30:31], v[78:79], s[16:17], -v[30:31]
	v_fma_f64 v[82:83], v[105:106], s[20:21], v[107:108]
	v_add_f64 v[72:73], v[72:73], v[80:81]
	v_add_f64 v[80:81], v[66:67], v[26:27]
	;; [unrolled: 1-line block ×3, first 2 shown]
	s_mov_b32 s10, 0xe8584cab
	s_mov_b32 s11, 0x3febb67a
	v_fma_f64 v[28:29], v[93:94], s[10:11], v[28:29]
	v_fma_f64 v[24:25], v[109:110], -0.5, v[103:104]
	v_add_f64 v[66:67], v[66:67], -v[26:27]
	v_fma_f64 v[26:27], v[74:75], s[10:11], v[30:31]
	v_fma_f64 v[30:31], v[72:73], -0.5, v[82:83]
	v_add_f64 v[82:83], v[99:100], v[80:81]
	v_add_f64 v[103:104], v[76:77], v[64:65]
	s_mov_b32 s18, 0x748a0bf8
	s_mov_b32 s24, 0x42522d1b
	;; [unrolled: 1-line block ×4, first 2 shown]
	v_fma_f64 v[28:29], v[91:92], s[18:19], v[28:29]
	v_fma_f64 v[24:25], v[80:81], s[24:25], v[24:25]
	;; [unrolled: 1-line block ×4, first 2 shown]
	v_add_f64 v[111:112], v[109:110], v[82:83]
	v_add_f64 v[113:114], v[72:73], v[103:104]
	;; [unrolled: 1-line block ×7, first 2 shown]
	v_add_f64 v[24:25], v[30:31], -v[107:108]
	v_add_f64 v[70:71], v[70:71], v[111:112]
	v_add_f64 v[68:69], v[68:69], v[113:114]
	;; [unrolled: 1-line block ×4, first 2 shown]
	v_fma_f64 v[121:122], v[64:65], s[22:23], v[56:57]
	v_fma_f64 v[30:31], v[28:29], -2.0, v[26:27]
	s_mov_b32 s27, 0xbfebb67a
	v_fma_f64 v[28:29], v[107:108], 2.0, v[24:25]
	v_add_f64 v[107:108], v[62:63], v[70:71]
	v_add_f64 v[119:120], v[60:61], v[68:69]
	v_add_f64 v[60:61], v[111:112], -v[95:96]
	v_fma_f64 v[62:63], v[82:83], -0.5, v[113:114]
	v_fma_f64 v[68:69], v[103:104], -0.5, v[115:116]
	v_mul_f64 v[82:83], v[89:90], s[16:17]
	v_fma_f64 v[103:104], v[97:98], s[22:23], v[58:59]
	v_fma_f64 v[111:112], v[105:106], s[22:23], v[56:57]
	v_mul_f64 v[113:114], v[101:102], s[16:17]
	s_mov_b32 s17, 0x3fe491b7
	v_add_f64 v[70:71], v[117:118], -v[78:79]
	v_mul_f64 v[115:116], v[91:92], s[16:17]
	v_fma_f64 v[117:118], v[80:81], s[22:23], v[58:59]
	v_mul_f64 v[123:124], v[66:67], s[16:17]
	v_fma_f64 v[82:83], v[91:92], s[8:9], v[82:83]
	v_fma_f64 v[80:81], v[80:81], s[20:21], v[103:104]
	;; [unrolled: 1-line block ×8, first 2 shown]
	s_mov_b32 s26, s10
	v_fma_f64 v[82:83], v[93:94], s[26:27], v[82:83]
	v_fma_f64 v[80:81], v[109:110], -0.5, v[80:81]
	v_fma_f64 v[64:65], v[72:73], -0.5, v[64:65]
	v_fma_f64 v[66:67], v[74:75], s[26:27], v[66:67]
	v_fma_f64 v[91:92], v[93:94], s[10:11], v[91:92]
	v_fma_f64 v[93:94], v[109:110], -0.5, v[103:104]
	v_fma_f64 v[72:73], v[72:73], -0.5, v[111:112]
	v_fma_f64 v[74:75], v[74:75], s[10:11], v[113:114]
	v_fma_f64 v[82:83], v[95:96], s[18:19], v[82:83]
	;; [unrolled: 1-line block ×9, first 2 shown]
	v_mul_f64 v[74:75], v[60:61], s[10:11]
	v_fma_f64 v[62:63], v[60:61], s[10:11], v[62:63]
	v_mul_f64 v[93:94], v[70:71], s[10:11]
	v_fma_f64 v[60:61], v[70:71], s[26:27], v[68:69]
	v_add_f64 v[66:67], v[82:83], v[80:81]
	v_add_f64 v[64:65], v[64:65], -v[76:77]
	v_add_f64 v[70:71], v[89:90], v[78:79]
	v_add_f64 v[68:69], v[72:73], -v[91:92]
	v_add_f64 v[58:59], v[58:59], v[107:108]
	v_add_f64 v[56:57], v[56:57], v[119:120]
	v_fma_f64 v[74:75], v[74:75], -2.0, v[62:63]
	v_fma_f64 v[72:73], v[93:94], 2.0, v[60:61]
	v_fma_f64 v[78:79], v[82:83], -2.0, v[66:67]
	v_fma_f64 v[76:77], v[76:77], 2.0, v[64:65]
	v_lshlrev_b32_e32 v87, 4, v87
	v_fma_f64 v[82:83], v[89:90], -2.0, v[70:71]
	v_fma_f64 v[80:81], v[91:92], 2.0, v[68:69]
	ds_write_b128 v87, v[56:59]
	ds_write_b128 v87, v[68:71] offset:16
	ds_write_b128 v87, v[64:67] offset:32
	;; [unrolled: 1-line block ×8, first 2 shown]
.LBB0_13:
	s_or_b64 exec, exec, s[2:3]
	s_waitcnt lgkmcnt(0)
	; wave barrier
	s_waitcnt lgkmcnt(0)
	ds_read_b128 v[24:27], v85 offset:1008
	ds_read_b128 v[28:31], v85 offset:2016
	;; [unrolled: 1-line block ×3, first 2 shown]
	ds_read_b128 v[60:63], v85
	ds_read_b128 v[64:67], v85 offset:4032
	ds_read_b128 v[68:71], v85 offset:5040
	;; [unrolled: 1-line block ×3, first 2 shown]
	s_mov_b32 s8, 0x37e14327
	s_waitcnt lgkmcnt(6)
	v_mul_f64 v[76:77], v[10:11], v[26:27]
	v_mul_f64 v[10:11], v[10:11], v[24:25]
	s_waitcnt lgkmcnt(5)
	v_mul_f64 v[78:79], v[6:7], v[30:31]
	v_mul_f64 v[6:7], v[6:7], v[28:29]
	s_mov_b32 s2, 0x36b3c0b5
	s_mov_b32 s16, 0xe976ee23
	;; [unrolled: 1-line block ×4, first 2 shown]
	v_fma_f64 v[24:25], v[8:9], v[24:25], v[76:77]
	v_fma_f64 v[8:9], v[8:9], v[26:27], -v[10:11]
	v_fma_f64 v[10:11], v[4:5], v[28:29], v[78:79]
	v_fma_f64 v[4:5], v[4:5], v[30:31], -v[6:7]
	s_waitcnt lgkmcnt(0)
	v_mul_f64 v[6:7], v[18:19], v[74:75]
	v_mul_f64 v[18:19], v[18:19], v[72:73]
	v_mul_f64 v[26:27], v[2:3], v[58:59]
	v_mul_f64 v[2:3], v[2:3], v[56:57]
	v_mul_f64 v[28:29], v[22:23], v[70:71]
	v_mul_f64 v[22:23], v[22:23], v[68:69]
	v_mul_f64 v[30:31], v[14:15], v[66:67]
	v_mul_f64 v[14:15], v[14:15], v[64:65]
	v_fma_f64 v[6:7], v[16:17], v[72:73], v[6:7]
	v_fma_f64 v[16:17], v[16:17], v[74:75], -v[18:19]
	v_fma_f64 v[18:19], v[0:1], v[56:57], v[26:27]
	v_fma_f64 v[0:1], v[0:1], v[58:59], -v[2:3]
	;; [unrolled: 2-line block ×4, first 2 shown]
	v_add_f64 v[14:15], v[24:25], v[6:7]
	v_add_f64 v[26:27], v[8:9], v[16:17]
	v_add_f64 v[6:7], v[24:25], -v[6:7]
	v_add_f64 v[8:9], v[8:9], -v[16:17]
	v_add_f64 v[16:17], v[10:11], v[2:3]
	v_add_f64 v[24:25], v[4:5], v[20:21]
	v_add_f64 v[2:3], v[10:11], -v[2:3]
	v_add_f64 v[4:5], v[4:5], -v[20:21]
	v_add_f64 v[10:11], v[18:19], v[22:23]
	v_add_f64 v[20:21], v[0:1], v[12:13]
	v_add_f64 v[18:19], v[22:23], -v[18:19]
	v_add_f64 v[0:1], v[12:13], -v[0:1]
	v_add_f64 v[12:13], v[16:17], v[14:15]
	v_add_f64 v[22:23], v[24:25], v[26:27]
	v_add_f64 v[28:29], v[16:17], -v[14:15]
	v_add_f64 v[30:31], v[24:25], -v[26:27]
	v_add_f64 v[14:15], v[14:15], -v[10:11]
	v_add_f64 v[26:27], v[26:27], -v[20:21]
	v_add_f64 v[16:17], v[10:11], -v[16:17]
	v_add_f64 v[24:25], v[20:21], -v[24:25]
	v_add_f64 v[56:57], v[18:19], v[2:3]
	v_add_f64 v[58:59], v[0:1], v[4:5]
	v_add_f64 v[64:65], v[18:19], -v[2:3]
	v_add_f64 v[66:67], v[0:1], -v[4:5]
	v_add_f64 v[10:11], v[10:11], v[12:13]
	v_add_f64 v[12:13], v[20:21], v[22:23]
	v_add_f64 v[22:23], v[2:3], -v[6:7]
	v_add_f64 v[4:5], v[4:5], -v[8:9]
	s_mov_b32 s17, 0x3fe11646
	s_mov_b32 s10, 0x429ad128
	v_add_f64 v[18:19], v[6:7], -v[18:19]
	v_add_f64 v[20:21], v[8:9], -v[0:1]
	v_add_f64 v[6:7], v[56:57], v[6:7]
	v_add_f64 v[8:9], v[58:59], v[8:9]
	;; [unrolled: 1-line block ×4, first 2 shown]
	v_mul_f64 v[14:15], v[14:15], s[8:9]
	v_mul_f64 v[26:27], v[26:27], s[8:9]
	;; [unrolled: 1-line block ×6, first 2 shown]
	s_mov_b32 s11, 0xbfebfeb5
	v_mul_f64 v[64:65], v[22:23], s[10:11]
	v_mul_f64 v[66:67], v[4:5], s[10:11]
	s_mov_b32 s18, 0xaaaaaaaa
	s_mov_b32 s20, 0x5476071b
	;; [unrolled: 1-line block ×8, first 2 shown]
	v_fma_f64 v[10:11], v[10:11], s[18:19], v[0:1]
	v_fma_f64 v[12:13], v[12:13], s[18:19], v[2:3]
	;; [unrolled: 1-line block ×4, first 2 shown]
	v_fma_f64 v[56:57], v[28:29], s[20:21], -v[56:57]
	v_fma_f64 v[58:59], v[30:31], s[20:21], -v[58:59]
	v_fma_f64 v[14:15], v[28:29], s[22:23], -v[14:15]
	v_fma_f64 v[26:27], v[30:31], s[22:23], -v[26:27]
	v_fma_f64 v[28:29], v[18:19], s[24:25], v[60:61]
	v_fma_f64 v[30:31], v[20:21], s[24:25], v[62:63]
	s_mov_b32 s29, 0x3fd5d0dc
	s_mov_b32 s28, s24
	v_fma_f64 v[18:19], v[18:19], s[28:29], -v[64:65]
	v_fma_f64 v[20:21], v[20:21], s[28:29], -v[66:67]
	;; [unrolled: 1-line block ×4, first 2 shown]
	s_mov_b32 s26, 0x37c3f68c
	s_mov_b32 s27, 0xbfdc38aa
	v_add_f64 v[60:61], v[16:17], v[10:11]
	v_add_f64 v[62:63], v[24:25], v[12:13]
	v_fma_f64 v[30:31], v[8:9], s[26:27], v[30:31]
	v_fma_f64 v[28:29], v[6:7], s[26:27], v[28:29]
	v_add_f64 v[16:17], v[56:57], v[10:11]
	v_add_f64 v[24:25], v[58:59], v[12:13]
	;; [unrolled: 1-line block ×4, first 2 shown]
	v_fma_f64 v[20:21], v[8:9], s[26:27], v[20:21]
	v_fma_f64 v[58:59], v[6:7], s[26:27], v[18:19]
	v_fma_f64 v[18:19], v[8:9], s[26:27], v[4:5]
	v_fma_f64 v[22:23], v[6:7], s[26:27], v[22:23]
	v_add_f64 v[4:5], v[30:31], v[60:61]
	v_add_f64 v[6:7], v[62:63], -v[28:29]
	s_waitcnt lgkmcnt(0)
	; wave barrier
	v_add_f64 v[8:9], v[20:21], v[56:57]
	v_add_f64 v[10:11], v[26:27], -v[58:59]
	v_add_f64 v[12:13], v[16:17], -v[18:19]
	v_add_f64 v[14:15], v[22:23], v[24:25]
	v_add_f64 v[16:17], v[18:19], v[16:17]
	v_add_f64 v[18:19], v[24:25], -v[22:23]
	v_add_f64 v[20:21], v[56:57], -v[20:21]
	v_add_f64 v[22:23], v[58:59], v[26:27]
	v_add_f64 v[24:25], v[60:61], -v[30:31]
	v_add_f64 v[26:27], v[28:29], v[62:63]
	ds_write_b128 v88, v[0:3]
	ds_write_b128 v88, v[4:7] offset:144
	ds_write_b128 v88, v[8:11] offset:288
	;; [unrolled: 1-line block ×6, first 2 shown]
	s_waitcnt lgkmcnt(0)
	; wave barrier
	s_waitcnt lgkmcnt(0)
	ds_read_b128 v[0:3], v85 offset:1008
	ds_read_b128 v[4:7], v85 offset:2016
	;; [unrolled: 1-line block ×3, first 2 shown]
	ds_read_b128 v[12:15], v85
	ds_read_b128 v[16:19], v85 offset:4032
	ds_read_b128 v[20:23], v85 offset:5040
	;; [unrolled: 1-line block ×3, first 2 shown]
	s_waitcnt lgkmcnt(6)
	v_mul_f64 v[28:29], v[46:47], v[2:3]
	v_mul_f64 v[30:31], v[46:47], v[0:1]
	s_waitcnt lgkmcnt(5)
	v_mul_f64 v[46:47], v[42:43], v[6:7]
	v_mul_f64 v[42:43], v[42:43], v[4:5]
	v_fma_f64 v[0:1], v[44:45], v[0:1], v[28:29]
	v_fma_f64 v[2:3], v[44:45], v[2:3], -v[30:31]
	s_waitcnt lgkmcnt(0)
	v_mul_f64 v[28:29], v[54:55], v[26:27]
	v_fma_f64 v[6:7], v[40:41], v[6:7], -v[42:43]
	v_mul_f64 v[30:31], v[54:55], v[24:25]
	v_mul_f64 v[42:43], v[50:51], v[22:23]
	;; [unrolled: 1-line block ×3, first 2 shown]
	v_fma_f64 v[4:5], v[40:41], v[4:5], v[46:47]
	v_mul_f64 v[40:41], v[38:39], v[10:11]
	v_mul_f64 v[38:39], v[38:39], v[8:9]
	;; [unrolled: 1-line block ×4, first 2 shown]
	v_fma_f64 v[24:25], v[52:53], v[24:25], v[28:29]
	v_fma_f64 v[26:27], v[52:53], v[26:27], -v[30:31]
	v_fma_f64 v[20:21], v[48:49], v[20:21], v[42:43]
	v_fma_f64 v[22:23], v[48:49], v[22:23], -v[44:45]
	;; [unrolled: 2-line block ×4, first 2 shown]
	v_add_f64 v[28:29], v[0:1], v[24:25]
	v_add_f64 v[30:31], v[2:3], v[26:27]
	v_add_f64 v[0:1], v[0:1], -v[24:25]
	v_add_f64 v[2:3], v[2:3], -v[26:27]
	v_add_f64 v[24:25], v[4:5], v[20:21]
	v_add_f64 v[26:27], v[6:7], v[22:23]
	v_add_f64 v[4:5], v[4:5], -v[20:21]
	v_add_f64 v[6:7], v[6:7], -v[22:23]
	;; [unrolled: 4-line block ×4, first 2 shown]
	v_add_f64 v[28:29], v[28:29], -v[20:21]
	v_add_f64 v[30:31], v[30:31], -v[22:23]
	;; [unrolled: 1-line block ×4, first 2 shown]
	v_add_f64 v[36:37], v[8:9], v[4:5]
	v_add_f64 v[38:39], v[10:11], v[6:7]
	v_add_f64 v[40:41], v[8:9], -v[4:5]
	v_add_f64 v[42:43], v[10:11], -v[6:7]
	v_add_f64 v[16:17], v[20:21], v[16:17]
	v_add_f64 v[18:19], v[22:23], v[18:19]
	v_add_f64 v[4:5], v[4:5], -v[0:1]
	v_add_f64 v[6:7], v[6:7], -v[2:3]
	;; [unrolled: 1-line block ×4, first 2 shown]
	v_add_f64 v[20:21], v[36:37], v[0:1]
	v_add_f64 v[22:23], v[38:39], v[2:3]
	;; [unrolled: 1-line block ×4, first 2 shown]
	v_mul_f64 v[12:13], v[28:29], s[8:9]
	v_mul_f64 v[14:15], v[30:31], s[8:9]
	;; [unrolled: 1-line block ×8, first 2 shown]
	v_fma_f64 v[16:17], v[16:17], s[18:19], v[0:1]
	v_fma_f64 v[18:19], v[18:19], s[18:19], v[2:3]
	;; [unrolled: 1-line block ×4, first 2 shown]
	v_fma_f64 v[28:29], v[32:33], s[20:21], -v[28:29]
	v_fma_f64 v[30:31], v[34:35], s[20:21], -v[30:31]
	;; [unrolled: 1-line block ×4, first 2 shown]
	v_fma_f64 v[32:33], v[8:9], s[24:25], v[36:37]
	v_fma_f64 v[34:35], v[10:11], s[24:25], v[38:39]
	v_fma_f64 v[8:9], v[8:9], s[28:29], -v[40:41]
	v_fma_f64 v[10:11], v[10:11], s[28:29], -v[42:43]
	;; [unrolled: 1-line block ×4, first 2 shown]
	v_add_f64 v[24:25], v[24:25], v[16:17]
	v_add_f64 v[26:27], v[26:27], v[18:19]
	v_fma_f64 v[32:33], v[20:21], s[26:27], v[32:33]
	v_fma_f64 v[34:35], v[22:23], s[26:27], v[34:35]
	v_add_f64 v[36:37], v[12:13], v[16:17]
	v_add_f64 v[38:39], v[14:15], v[18:19]
	v_fma_f64 v[40:41], v[22:23], s[26:27], v[10:11]
	v_fma_f64 v[42:43], v[20:21], s[26:27], v[8:9]
	;; [unrolled: 4-line block ×3, first 2 shown]
	v_add_f64 v[4:5], v[34:35], v[24:25]
	v_add_f64 v[6:7], v[26:27], -v[32:33]
	v_add_f64 v[8:9], v[40:41], v[36:37]
	v_add_f64 v[10:11], v[38:39], -v[42:43]
	v_add_f64 v[20:21], v[36:37], -v[40:41]
	v_add_f64 v[22:23], v[42:43], v[38:39]
	v_add_f64 v[12:13], v[28:29], -v[16:17]
	v_add_f64 v[14:15], v[18:19], v[30:31]
	v_add_f64 v[16:17], v[16:17], v[28:29]
	v_add_f64 v[18:19], v[30:31], -v[18:19]
	v_add_f64 v[24:25], v[24:25], -v[34:35]
	v_add_f64 v[26:27], v[32:33], v[26:27]
	ds_write_b128 v85, v[0:3]
	ds_write_b128 v85, v[4:7] offset:1008
	ds_write_b128 v85, v[8:11] offset:2016
	;; [unrolled: 1-line block ×6, first 2 shown]
	s_waitcnt lgkmcnt(0)
	; wave barrier
	s_waitcnt lgkmcnt(0)
	s_and_b64 exec, exec, s[0:1]
	s_cbranch_execz .LBB0_15
; %bb.14:
	global_load_dwordx4 v[0:3], v85, s[14:15]
	global_load_dwordx4 v[4:7], v85, s[14:15] offset:784
	global_load_dwordx4 v[8:11], v85, s[14:15] offset:1568
	;; [unrolled: 1-line block ×4, first 2 shown]
	ds_read_b128 v[20:23], v85
	ds_read_b128 v[24:27], v85 offset:784
	global_load_dwordx4 v[28:31], v85, s[14:15] offset:3920
	v_mov_b32_e32 v40, s15
	v_mad_u64_u32 v[66:67], s[2:3], s4, v86, 0
	v_add_co_u32_e32 v41, vcc, s14, v85
	v_mad_u64_u32 v[64:65], s[0:1], s6, v84, 0
	s_mul_hi_u32 s6, s4, 0x310
	s_mul_i32 s2, s4, 0x310
	s_movk_i32 s4, 0x1000
	v_addc_co_u32_e32 v40, vcc, 0, v40, vcc
	v_add_co_u32_e32 v68, vcc, s4, v41
	v_addc_co_u32_e32 v69, vcc, 0, v40, vcc
	ds_read_b128 v[32:35], v85 offset:1568
	ds_read_b128 v[36:39], v85 offset:2352
	global_load_dwordx4 v[40:43], v[68:69], off offset:608
	s_mul_i32 s3, s5, 0x310
	v_mov_b32_e32 v56, v65
	v_mov_b32_e32 v57, v67
	s_add_i32 s3, s6, s3
	v_mad_u64_u32 v[70:71], s[6:7], s7, v84, v[56:57]
	ds_read_b128 v[44:47], v85 offset:3136
	ds_read_b128 v[48:51], v85 offset:3920
	;; [unrolled: 1-line block ×3, first 2 shown]
	v_mad_u64_u32 v[71:72], s[4:5], s5, v86, v[57:58]
	global_load_dwordx4 v[56:59], v[68:69], off offset:1392
	global_load_dwordx4 v[60:63], v[68:69], off offset:2176
	v_mov_b32_e32 v65, v70
	v_lshlrev_b64 v[64:65], 4, v[64:65]
	v_mov_b32_e32 v67, v71
	v_mov_b32_e32 v73, s13
	v_lshlrev_b64 v[66:67], 4, v[66:67]
	v_add_co_u32_e32 v64, vcc, s12, v64
	v_addc_co_u32_e32 v65, vcc, v73, v65, vcc
	v_add_co_u32_e32 v64, vcc, v64, v66
	v_addc_co_u32_e32 v65, vcc, v65, v67, vcc
	v_mov_b32_e32 v74, s3
	v_add_co_u32_e32 v66, vcc, s2, v64
	v_addc_co_u32_e32 v67, vcc, v65, v74, vcc
	v_mov_b32_e32 v75, s3
	;; [unrolled: 3-line block ×3, first 2 shown]
	v_add_co_u32_e32 v70, vcc, s2, v68
	v_addc_co_u32_e32 v71, vcc, v69, v76, vcc
	s_mov_b32 s0, 0x5bb804a5
	s_mov_b32 s1, 0x3f629372
	s_waitcnt vmcnt(8) lgkmcnt(6)
	v_mul_f64 v[72:73], v[22:23], v[2:3]
	v_mul_f64 v[2:3], v[20:21], v[2:3]
	s_waitcnt vmcnt(7) lgkmcnt(5)
	v_mul_f64 v[74:75], v[26:27], v[6:7]
	v_mul_f64 v[6:7], v[24:25], v[6:7]
	;; [unrolled: 3-line block ×4, first 2 shown]
	v_fma_f64 v[20:21], v[20:21], v[0:1], v[72:73]
	v_fma_f64 v[2:3], v[0:1], v[22:23], -v[2:3]
	v_fma_f64 v[22:23], v[24:25], v[4:5], v[74:75]
	v_fma_f64 v[6:7], v[4:5], v[26:27], -v[6:7]
	;; [unrolled: 2-line block ×4, first 2 shown]
	s_waitcnt vmcnt(4) lgkmcnt(2)
	v_mul_f64 v[80:81], v[46:47], v[18:19]
	v_mul_f64 v[18:19], v[44:45], v[18:19]
	v_mul_f64 v[0:1], v[20:21], s[0:1]
	v_mul_f64 v[2:3], v[2:3], s[0:1]
	v_mul_f64 v[4:5], v[22:23], s[0:1]
	v_mul_f64 v[6:7], v[6:7], s[0:1]
	v_mul_f64 v[8:9], v[24:25], s[0:1]
	v_mul_f64 v[10:11], v[10:11], s[0:1]
	v_mul_f64 v[12:13], v[26:27], s[0:1]
	v_mul_f64 v[14:15], v[14:15], s[0:1]
	v_fma_f64 v[32:33], v[44:45], v[16:17], v[80:81]
	v_fma_f64 v[18:19], v[16:17], v[46:47], -v[18:19]
	global_store_dwordx4 v[64:65], v[0:3], off
	global_store_dwordx4 v[66:67], v[4:7], off
	;; [unrolled: 1-line block ×4, first 2 shown]
	s_waitcnt vmcnt(7) lgkmcnt(1)
	v_mul_f64 v[20:21], v[50:51], v[30:31]
	v_mul_f64 v[22:23], v[48:49], v[30:31]
	ds_read_b128 v[0:3], v85 offset:4704
	ds_read_b128 v[4:7], v85 offset:5488
	v_mul_f64 v[16:17], v[32:33], s[0:1]
	v_mul_f64 v[18:19], v[18:19], s[0:1]
	v_mov_b32_e32 v24, s3
	s_waitcnt vmcnt(6) lgkmcnt(1)
	v_mul_f64 v[12:13], v[2:3], v[42:43]
	v_mul_f64 v[14:15], v[0:1], v[42:43]
	v_fma_f64 v[8:9], v[48:49], v[28:29], v[20:21]
	v_fma_f64 v[10:11], v[28:29], v[50:51], -v[22:23]
	v_add_co_u32_e32 v20, vcc, s2, v70
	v_addc_co_u32_e32 v21, vcc, v71, v24, vcc
	global_store_dwordx4 v[20:21], v[16:19], off
	v_fma_f64 v[0:1], v[0:1], v[40:41], v[12:13]
	v_mov_b32_e32 v16, s3
	v_add_co_u32_e32 v12, vcc, s2, v20
	v_fma_f64 v[2:3], v[40:41], v[2:3], -v[14:15]
	v_addc_co_u32_e32 v13, vcc, v21, v16, vcc
	s_waitcnt vmcnt(6) lgkmcnt(0)
	v_mul_f64 v[14:15], v[6:7], v[58:59]
	v_mul_f64 v[16:17], v[4:5], v[58:59]
	;; [unrolled: 1-line block ×4, first 2 shown]
	s_waitcnt vmcnt(5)
	v_mul_f64 v[18:19], v[54:55], v[62:63]
	v_mul_f64 v[20:21], v[52:53], v[62:63]
	;; [unrolled: 1-line block ×4, first 2 shown]
	v_fma_f64 v[4:5], v[4:5], v[56:57], v[14:15]
	v_fma_f64 v[6:7], v[56:57], v[6:7], -v[16:17]
	v_mov_b32_e32 v22, s3
	global_store_dwordx4 v[12:13], v[8:11], off
	v_add_co_u32_e32 v12, vcc, s2, v12
	v_fma_f64 v[8:9], v[52:53], v[60:61], v[18:19]
	v_fma_f64 v[10:11], v[60:61], v[54:55], -v[20:21]
	v_addc_co_u32_e32 v13, vcc, v13, v22, vcc
	global_store_dwordx4 v[12:13], v[0:3], off
	v_mov_b32_e32 v14, s3
	v_mul_f64 v[0:1], v[4:5], s[0:1]
	v_mul_f64 v[2:3], v[6:7], s[0:1]
	;; [unrolled: 1-line block ×4, first 2 shown]
	v_add_co_u32_e32 v8, vcc, s2, v12
	v_addc_co_u32_e32 v9, vcc, v13, v14, vcc
	global_store_dwordx4 v[8:9], v[0:3], off
	s_nop 0
	v_mov_b32_e32 v1, s3
	v_add_co_u32_e32 v0, vcc, s2, v8
	v_addc_co_u32_e32 v1, vcc, v9, v1, vcc
	global_store_dwordx4 v[0:1], v[4:7], off
.LBB0_15:
	s_endpgm
	.section	.rodata,"a",@progbits
	.p2align	6, 0x0
	.amdhsa_kernel bluestein_single_back_len441_dim1_dp_op_CI_CI
		.amdhsa_group_segment_fixed_size 7056
		.amdhsa_private_segment_fixed_size 0
		.amdhsa_kernarg_size 104
		.amdhsa_user_sgpr_count 6
		.amdhsa_user_sgpr_private_segment_buffer 1
		.amdhsa_user_sgpr_dispatch_ptr 0
		.amdhsa_user_sgpr_queue_ptr 0
		.amdhsa_user_sgpr_kernarg_segment_ptr 1
		.amdhsa_user_sgpr_dispatch_id 0
		.amdhsa_user_sgpr_flat_scratch_init 0
		.amdhsa_user_sgpr_private_segment_size 0
		.amdhsa_uses_dynamic_stack 0
		.amdhsa_system_sgpr_private_segment_wavefront_offset 0
		.amdhsa_system_sgpr_workgroup_id_x 1
		.amdhsa_system_sgpr_workgroup_id_y 0
		.amdhsa_system_sgpr_workgroup_id_z 0
		.amdhsa_system_sgpr_workgroup_info 0
		.amdhsa_system_vgpr_workitem_id 0
		.amdhsa_next_free_vgpr 125
		.amdhsa_next_free_sgpr 34
		.amdhsa_reserve_vcc 1
		.amdhsa_reserve_flat_scratch 0
		.amdhsa_float_round_mode_32 0
		.amdhsa_float_round_mode_16_64 0
		.amdhsa_float_denorm_mode_32 3
		.amdhsa_float_denorm_mode_16_64 3
		.amdhsa_dx10_clamp 1
		.amdhsa_ieee_mode 1
		.amdhsa_fp16_overflow 0
		.amdhsa_exception_fp_ieee_invalid_op 0
		.amdhsa_exception_fp_denorm_src 0
		.amdhsa_exception_fp_ieee_div_zero 0
		.amdhsa_exception_fp_ieee_overflow 0
		.amdhsa_exception_fp_ieee_underflow 0
		.amdhsa_exception_fp_ieee_inexact 0
		.amdhsa_exception_int_div_zero 0
	.end_amdhsa_kernel
	.text
.Lfunc_end0:
	.size	bluestein_single_back_len441_dim1_dp_op_CI_CI, .Lfunc_end0-bluestein_single_back_len441_dim1_dp_op_CI_CI
                                        ; -- End function
	.section	.AMDGPU.csdata,"",@progbits
; Kernel info:
; codeLenInByte = 9144
; NumSgprs: 38
; NumVgprs: 125
; ScratchSize: 0
; MemoryBound: 0
; FloatMode: 240
; IeeeMode: 1
; LDSByteSize: 7056 bytes/workgroup (compile time only)
; SGPRBlocks: 4
; VGPRBlocks: 31
; NumSGPRsForWavesPerEU: 38
; NumVGPRsForWavesPerEU: 125
; Occupancy: 2
; WaveLimiterHint : 1
; COMPUTE_PGM_RSRC2:SCRATCH_EN: 0
; COMPUTE_PGM_RSRC2:USER_SGPR: 6
; COMPUTE_PGM_RSRC2:TRAP_HANDLER: 0
; COMPUTE_PGM_RSRC2:TGID_X_EN: 1
; COMPUTE_PGM_RSRC2:TGID_Y_EN: 0
; COMPUTE_PGM_RSRC2:TGID_Z_EN: 0
; COMPUTE_PGM_RSRC2:TIDIG_COMP_CNT: 0
	.type	__hip_cuid_8b79c790d5cda972,@object ; @__hip_cuid_8b79c790d5cda972
	.section	.bss,"aw",@nobits
	.globl	__hip_cuid_8b79c790d5cda972
__hip_cuid_8b79c790d5cda972:
	.byte	0                               ; 0x0
	.size	__hip_cuid_8b79c790d5cda972, 1

	.ident	"AMD clang version 19.0.0git (https://github.com/RadeonOpenCompute/llvm-project roc-6.4.0 25133 c7fe45cf4b819c5991fe208aaa96edf142730f1d)"
	.section	".note.GNU-stack","",@progbits
	.addrsig
	.addrsig_sym __hip_cuid_8b79c790d5cda972
	.amdgpu_metadata
---
amdhsa.kernels:
  - .args:
      - .actual_access:  read_only
        .address_space:  global
        .offset:         0
        .size:           8
        .value_kind:     global_buffer
      - .actual_access:  read_only
        .address_space:  global
        .offset:         8
        .size:           8
        .value_kind:     global_buffer
      - .actual_access:  read_only
        .address_space:  global
        .offset:         16
        .size:           8
        .value_kind:     global_buffer
      - .actual_access:  read_only
        .address_space:  global
        .offset:         24
        .size:           8
        .value_kind:     global_buffer
      - .actual_access:  read_only
        .address_space:  global
        .offset:         32
        .size:           8
        .value_kind:     global_buffer
      - .offset:         40
        .size:           8
        .value_kind:     by_value
      - .address_space:  global
        .offset:         48
        .size:           8
        .value_kind:     global_buffer
      - .address_space:  global
        .offset:         56
        .size:           8
        .value_kind:     global_buffer
      - .address_space:  global
        .offset:         64
        .size:           8
        .value_kind:     global_buffer
      - .address_space:  global
        .offset:         72
        .size:           8
        .value_kind:     global_buffer
      - .offset:         80
        .size:           4
        .value_kind:     by_value
      - .address_space:  global
        .offset:         88
        .size:           8
        .value_kind:     global_buffer
      - .address_space:  global
        .offset:         96
        .size:           8
        .value_kind:     global_buffer
    .group_segment_fixed_size: 7056
    .kernarg_segment_align: 8
    .kernarg_segment_size: 104
    .language:       OpenCL C
    .language_version:
      - 2
      - 0
    .max_flat_workgroup_size: 63
    .name:           bluestein_single_back_len441_dim1_dp_op_CI_CI
    .private_segment_fixed_size: 0
    .sgpr_count:     38
    .sgpr_spill_count: 0
    .symbol:         bluestein_single_back_len441_dim1_dp_op_CI_CI.kd
    .uniform_work_group_size: 1
    .uses_dynamic_stack: false
    .vgpr_count:     125
    .vgpr_spill_count: 0
    .wavefront_size: 64
amdhsa.target:   amdgcn-amd-amdhsa--gfx906
amdhsa.version:
  - 1
  - 2
...

	.end_amdgpu_metadata
